;; amdgpu-corpus repo=ROCm/rocFFT kind=compiled arch=gfx1030 opt=O3
	.text
	.amdgcn_target "amdgcn-amd-amdhsa--gfx1030"
	.amdhsa_code_object_version 6
	.protected	fft_rtc_back_len442_factors_17_2_13_wgs_238_tpt_34_halfLds_sp_ip_CI_unitstride_sbrr_R2C_dirReg ; -- Begin function fft_rtc_back_len442_factors_17_2_13_wgs_238_tpt_34_halfLds_sp_ip_CI_unitstride_sbrr_R2C_dirReg
	.globl	fft_rtc_back_len442_factors_17_2_13_wgs_238_tpt_34_halfLds_sp_ip_CI_unitstride_sbrr_R2C_dirReg
	.p2align	8
	.type	fft_rtc_back_len442_factors_17_2_13_wgs_238_tpt_34_halfLds_sp_ip_CI_unitstride_sbrr_R2C_dirReg,@function
fft_rtc_back_len442_factors_17_2_13_wgs_238_tpt_34_halfLds_sp_ip_CI_unitstride_sbrr_R2C_dirReg: ; @fft_rtc_back_len442_factors_17_2_13_wgs_238_tpt_34_halfLds_sp_ip_CI_unitstride_sbrr_R2C_dirReg
; %bb.0:
	s_load_dwordx4 s[8:11], s[4:5], 0x0
	v_mul_u32_u24_e32 v1, 0x788, v0
	s_clause 0x1
	s_load_dwordx2 s[2:3], s[4:5], 0x50
	s_load_dwordx2 s[12:13], s[4:5], 0x18
	v_mov_b32_e32 v5, 0
	v_mov_b32_e32 v3, 0
	;; [unrolled: 1-line block ×3, first 2 shown]
	v_lshrrev_b32_e32 v1, 16, v1
	v_mad_u64_u32 v[1:2], null, s6, 7, v[1:2]
	v_mov_b32_e32 v2, v5
	v_mov_b32_e32 v10, v2
	;; [unrolled: 1-line block ×3, first 2 shown]
	s_waitcnt lgkmcnt(0)
	v_cmp_lt_u64_e64 s0, s[10:11], 2
	s_and_b32 vcc_lo, exec_lo, s0
	s_cbranch_vccnz .LBB0_8
; %bb.1:
	s_load_dwordx2 s[0:1], s[4:5], 0x10
	v_mov_b32_e32 v3, 0
	v_mov_b32_e32 v8, v2
	s_add_u32 s6, s12, 8
	v_mov_b32_e32 v4, 0
	v_mov_b32_e32 v7, v1
	s_addc_u32 s7, s13, 0
	s_mov_b64 s[16:17], 1
	s_waitcnt lgkmcnt(0)
	s_add_u32 s14, s0, 8
	s_addc_u32 s15, s1, 0
.LBB0_2:                                ; =>This Inner Loop Header: Depth=1
	s_load_dwordx2 s[18:19], s[14:15], 0x0
                                        ; implicit-def: $vgpr9_vgpr10
	s_mov_b32 s0, exec_lo
	s_waitcnt lgkmcnt(0)
	v_or_b32_e32 v6, s19, v8
	v_cmpx_ne_u64_e32 0, v[5:6]
	s_xor_b32 s1, exec_lo, s0
	s_cbranch_execz .LBB0_4
; %bb.3:                                ;   in Loop: Header=BB0_2 Depth=1
	v_cvt_f32_u32_e32 v2, s18
	v_cvt_f32_u32_e32 v6, s19
	s_sub_u32 s0, 0, s18
	s_subb_u32 s20, 0, s19
	v_fmac_f32_e32 v2, 0x4f800000, v6
	v_rcp_f32_e32 v2, v2
	v_mul_f32_e32 v2, 0x5f7ffffc, v2
	v_mul_f32_e32 v6, 0x2f800000, v2
	v_trunc_f32_e32 v6, v6
	v_fmac_f32_e32 v2, 0xcf800000, v6
	v_cvt_u32_f32_e32 v6, v6
	v_cvt_u32_f32_e32 v2, v2
	v_mul_lo_u32 v9, s0, v6
	v_mul_hi_u32 v10, s0, v2
	v_mul_lo_u32 v11, s20, v2
	v_add_nc_u32_e32 v9, v10, v9
	v_mul_lo_u32 v10, s0, v2
	v_add_nc_u32_e32 v9, v9, v11
	v_mul_hi_u32 v11, v2, v10
	v_mul_lo_u32 v12, v2, v9
	v_mul_hi_u32 v13, v2, v9
	v_mul_hi_u32 v14, v6, v10
	v_mul_lo_u32 v10, v6, v10
	v_mul_hi_u32 v15, v6, v9
	v_mul_lo_u32 v9, v6, v9
	v_add_co_u32 v11, vcc_lo, v11, v12
	v_add_co_ci_u32_e32 v12, vcc_lo, 0, v13, vcc_lo
	v_add_co_u32 v10, vcc_lo, v11, v10
	v_add_co_ci_u32_e32 v10, vcc_lo, v12, v14, vcc_lo
	v_add_co_ci_u32_e32 v11, vcc_lo, 0, v15, vcc_lo
	v_add_co_u32 v9, vcc_lo, v10, v9
	v_add_co_ci_u32_e32 v10, vcc_lo, 0, v11, vcc_lo
	v_add_co_u32 v2, vcc_lo, v2, v9
	v_add_co_ci_u32_e32 v6, vcc_lo, v6, v10, vcc_lo
	v_mul_hi_u32 v9, s0, v2
	v_mul_lo_u32 v11, s20, v2
	v_mul_lo_u32 v10, s0, v6
	v_add_nc_u32_e32 v9, v9, v10
	v_mul_lo_u32 v10, s0, v2
	v_add_nc_u32_e32 v9, v9, v11
	v_mul_hi_u32 v11, v2, v10
	v_mul_lo_u32 v12, v2, v9
	v_mul_hi_u32 v13, v2, v9
	v_mul_hi_u32 v14, v6, v10
	v_mul_lo_u32 v10, v6, v10
	v_mul_hi_u32 v15, v6, v9
	v_mul_lo_u32 v9, v6, v9
	v_add_co_u32 v11, vcc_lo, v11, v12
	v_add_co_ci_u32_e32 v12, vcc_lo, 0, v13, vcc_lo
	v_add_co_u32 v10, vcc_lo, v11, v10
	v_add_co_ci_u32_e32 v10, vcc_lo, v12, v14, vcc_lo
	v_add_co_ci_u32_e32 v11, vcc_lo, 0, v15, vcc_lo
	v_add_co_u32 v9, vcc_lo, v10, v9
	v_add_co_ci_u32_e32 v10, vcc_lo, 0, v11, vcc_lo
	v_add_co_u32 v2, vcc_lo, v2, v9
	v_add_co_ci_u32_e32 v6, vcc_lo, v6, v10, vcc_lo
	v_mul_hi_u32 v15, v7, v2
	v_mad_u64_u32 v[11:12], null, v8, v2, 0
	v_mad_u64_u32 v[9:10], null, v7, v6, 0
	v_mad_u64_u32 v[13:14], null, v8, v6, 0
	v_add_co_u32 v2, vcc_lo, v15, v9
	v_add_co_ci_u32_e32 v6, vcc_lo, 0, v10, vcc_lo
	v_add_co_u32 v2, vcc_lo, v2, v11
	v_add_co_ci_u32_e32 v2, vcc_lo, v6, v12, vcc_lo
	v_add_co_ci_u32_e32 v6, vcc_lo, 0, v14, vcc_lo
	v_add_co_u32 v2, vcc_lo, v2, v13
	v_add_co_ci_u32_e32 v6, vcc_lo, 0, v6, vcc_lo
	v_mul_lo_u32 v11, s19, v2
	v_mad_u64_u32 v[9:10], null, s18, v2, 0
	v_mul_lo_u32 v12, s18, v6
	v_sub_co_u32 v9, vcc_lo, v7, v9
	v_add3_u32 v10, v10, v12, v11
	v_sub_nc_u32_e32 v11, v8, v10
	v_subrev_co_ci_u32_e64 v11, s0, s19, v11, vcc_lo
	v_add_co_u32 v12, s0, v2, 2
	v_add_co_ci_u32_e64 v13, s0, 0, v6, s0
	v_sub_co_u32 v14, s0, v9, s18
	v_sub_co_ci_u32_e32 v10, vcc_lo, v8, v10, vcc_lo
	v_subrev_co_ci_u32_e64 v11, s0, 0, v11, s0
	v_cmp_le_u32_e32 vcc_lo, s18, v14
	v_cmp_eq_u32_e64 s0, s19, v10
	v_cndmask_b32_e64 v14, 0, -1, vcc_lo
	v_cmp_le_u32_e32 vcc_lo, s19, v11
	v_cndmask_b32_e64 v15, 0, -1, vcc_lo
	v_cmp_le_u32_e32 vcc_lo, s18, v9
	;; [unrolled: 2-line block ×3, first 2 shown]
	v_cndmask_b32_e64 v16, 0, -1, vcc_lo
	v_cmp_eq_u32_e32 vcc_lo, s19, v11
	v_cndmask_b32_e64 v9, v16, v9, s0
	v_cndmask_b32_e32 v11, v15, v14, vcc_lo
	v_add_co_u32 v14, vcc_lo, v2, 1
	v_add_co_ci_u32_e32 v15, vcc_lo, 0, v6, vcc_lo
	v_cmp_ne_u32_e32 vcc_lo, 0, v11
	v_cndmask_b32_e32 v10, v15, v13, vcc_lo
	v_cndmask_b32_e32 v11, v14, v12, vcc_lo
	v_cmp_ne_u32_e32 vcc_lo, 0, v9
	v_cndmask_b32_e32 v10, v6, v10, vcc_lo
	v_cndmask_b32_e32 v9, v2, v11, vcc_lo
.LBB0_4:                                ;   in Loop: Header=BB0_2 Depth=1
	s_andn2_saveexec_b32 s0, s1
	s_cbranch_execz .LBB0_6
; %bb.5:                                ;   in Loop: Header=BB0_2 Depth=1
	v_cvt_f32_u32_e32 v2, s18
	s_sub_i32 s1, 0, s18
	v_rcp_iflag_f32_e32 v2, v2
	v_mul_f32_e32 v2, 0x4f7ffffe, v2
	v_cvt_u32_f32_e32 v2, v2
	v_mul_lo_u32 v6, s1, v2
	v_mul_hi_u32 v6, v2, v6
	v_add_nc_u32_e32 v2, v2, v6
	v_mul_hi_u32 v2, v7, v2
	v_mul_lo_u32 v6, v2, s18
	v_add_nc_u32_e32 v9, 1, v2
	v_sub_nc_u32_e32 v6, v7, v6
	v_subrev_nc_u32_e32 v10, s18, v6
	v_cmp_le_u32_e32 vcc_lo, s18, v6
	v_cndmask_b32_e32 v6, v6, v10, vcc_lo
	v_cndmask_b32_e32 v2, v2, v9, vcc_lo
	v_mov_b32_e32 v10, v5
	v_cmp_le_u32_e32 vcc_lo, s18, v6
	v_add_nc_u32_e32 v9, 1, v2
	v_cndmask_b32_e32 v9, v2, v9, vcc_lo
.LBB0_6:                                ;   in Loop: Header=BB0_2 Depth=1
	s_or_b32 exec_lo, exec_lo, s0
	s_load_dwordx2 s[0:1], s[6:7], 0x0
	v_mul_lo_u32 v2, v10, s18
	v_mul_lo_u32 v6, v9, s19
	v_mad_u64_u32 v[11:12], null, v9, s18, 0
	s_add_u32 s16, s16, 1
	s_addc_u32 s17, s17, 0
	s_add_u32 s6, s6, 8
	s_addc_u32 s7, s7, 0
	;; [unrolled: 2-line block ×3, first 2 shown]
	v_add3_u32 v2, v12, v6, v2
	v_sub_co_u32 v6, vcc_lo, v7, v11
	v_sub_co_ci_u32_e32 v2, vcc_lo, v8, v2, vcc_lo
	s_waitcnt lgkmcnt(0)
	v_mul_lo_u32 v7, s1, v6
	v_mul_lo_u32 v2, s0, v2
	v_mad_u64_u32 v[3:4], null, s0, v6, v[3:4]
	v_cmp_ge_u64_e64 s0, s[16:17], s[10:11]
	s_and_b32 vcc_lo, exec_lo, s0
	v_add3_u32 v4, v7, v4, v2
	s_cbranch_vccnz .LBB0_8
; %bb.7:                                ;   in Loop: Header=BB0_2 Depth=1
	v_mov_b32_e32 v7, v9
	v_mov_b32_e32 v8, v10
	s_branch .LBB0_2
.LBB0_8:
	v_mul_hi_u32 v2, 0x24924925, v1
	s_lshl_b64 s[0:1], s[10:11], 3
	s_load_dwordx2 s[4:5], s[4:5], 0x20
	s_add_u32 s0, s12, s0
	s_addc_u32 s1, s13, s1
	s_load_dwordx2 s[0:1], s[0:1], 0x0
	v_sub_nc_u32_e32 v5, v1, v2
	v_lshrrev_b32_e32 v5, 1, v5
	v_add_nc_u32_e32 v2, v5, v2
	v_mul_hi_u32 v5, 0x7878788, v0
	s_waitcnt lgkmcnt(0)
	v_cmp_gt_u64_e32 vcc_lo, s[4:5], v[9:10]
	v_lshrrev_b32_e32 v2, 2, v2
	v_mul_lo_u32 v7, s0, v10
	v_mul_lo_u32 v8, s1, v9
	;; [unrolled: 1-line block ×3, first 2 shown]
	v_mad_u64_u32 v[2:3], null, s0, v9, v[3:4]
	v_mul_u32_u24_e32 v4, 34, v5
	v_sub_nc_u32_e32 v36, v0, v4
	v_sub_nc_u32_e32 v1, v1, v6
	v_add3_u32 v3, v8, v3, v7
	v_lshlrev_b32_e32 v43, 3, v36
	v_mul_u32_u24_e32 v1, 0x1bb, v1
	v_lshlrev_b64 v[38:39], 3, v[2:3]
	v_lshlrev_b32_e32 v45, 3, v1
	s_and_saveexec_b32 s1, vcc_lo
	s_cbranch_execz .LBB0_10
; %bb.9:
	v_mov_b32_e32 v37, 0
	v_add_co_u32 v2, s0, s2, v38
	v_add_co_ci_u32_e64 v3, s0, s3, v39, s0
	v_lshlrev_b64 v[0:1], 3, v[36:37]
	v_add3_u32 v26, 0, v45, v43
	v_add_nc_u32_e32 v27, 0x800, v26
	v_add_co_u32 v0, s0, v2, v0
	v_add_co_ci_u32_e64 v1, s0, v3, v1, s0
	s_clause 0x3
	global_load_dwordx2 v[2:3], v[0:1], off
	global_load_dwordx2 v[4:5], v[0:1], off offset:272
	global_load_dwordx2 v[6:7], v[0:1], off offset:544
	;; [unrolled: 1-line block ×3, first 2 shown]
	v_add_co_u32 v10, s0, 0x800, v0
	v_add_co_ci_u32_e64 v11, s0, 0, v1, s0
	s_clause 0x8
	global_load_dwordx2 v[12:13], v[0:1], off offset:1088
	global_load_dwordx2 v[14:15], v[0:1], off offset:1360
	global_load_dwordx2 v[16:17], v[0:1], off offset:1632
	global_load_dwordx2 v[0:1], v[0:1], off offset:1904
	global_load_dwordx2 v[18:19], v[10:11], off offset:128
	global_load_dwordx2 v[20:21], v[10:11], off offset:400
	global_load_dwordx2 v[22:23], v[10:11], off offset:672
	global_load_dwordx2 v[24:25], v[10:11], off offset:944
	global_load_dwordx2 v[10:11], v[10:11], off offset:1216
	s_waitcnt vmcnt(11)
	ds_write2_b64 v26, v[2:3], v[4:5] offset1:34
	s_waitcnt vmcnt(9)
	ds_write2_b64 v26, v[6:7], v[8:9] offset0:68 offset1:102
	s_waitcnt vmcnt(7)
	ds_write2_b64 v26, v[12:13], v[14:15] offset0:136 offset1:170
	;; [unrolled: 2-line block ×5, first 2 shown]
	s_waitcnt vmcnt(0)
	ds_write_b64 v26, v[10:11] offset:3264
.LBB0_10:
	s_or_b32 exec_lo, exec_lo, s1
	v_add3_u32 v44, 0, v43, v45
	s_waitcnt lgkmcnt(0)
	s_barrier
	buffer_gl0_inv
	v_add_nc_u32_e32 v37, 0, v45
	v_add_nc_u32_e32 v46, 0x800, v44
	;; [unrolled: 1-line block ×3, first 2 shown]
	s_mov_b32 s1, exec_lo
	ds_read2_b64 v[20:23], v44 offset0:26 offset1:52
	ds_read2_b64 v[4:7], v46 offset0:134 offset1:160
	;; [unrolled: 1-line block ×4, first 2 shown]
	v_add_nc_u32_e32 v42, v37, v43
	ds_read2_b64 v[32:35], v44 offset0:130 offset1:156
	ds_read2_b64 v[12:15], v46 offset0:30 offset1:56
	;; [unrolled: 1-line block ×3, first 2 shown]
	ds_read_b64 v[40:41], v42
	ds_read2_b64 v[24:27], v47 offset0:106 offset1:132
	s_waitcnt lgkmcnt(0)
	s_barrier
	buffer_gl0_inv
	v_sub_f32_e32 v68, v21, v7
	v_add_f32_e32 v53, v6, v20
	v_add_f32_e32 v76, v7, v21
	v_sub_f32_e32 v67, v23, v5
	v_sub_f32_e32 v59, v20, v6
	v_mul_f32_e32 v98, 0xbf7ee86f, v68
	v_add_f32_e32 v51, v4, v22
	v_add_f32_e32 v75, v5, v23
	v_sub_f32_e32 v66, v17, v11
	v_mul_f32_e32 v107, 0x3dbcf732, v76
	v_mul_f32_e32 v97, 0xbe3c28d5, v67
	v_fma_f32 v0, 0x3dbcf732, v53, -v98
	v_sub_f32_e32 v55, v22, v4
	v_add_f32_e32 v50, v10, v16
	v_add_f32_e32 v70, v11, v17
	v_sub_f32_e32 v65, v19, v9
	v_mul_f32_e32 v106, 0xbf7ba420, v75
	v_mul_f32_e32 v95, 0x3f763a35, v66
	v_fmamk_f32 v1, v59, 0xbf7ee86f, v107
	v_fma_f32 v2, 0xbf7ba420, v51, -v97
	v_add_f32_e32 v0, v40, v0
	v_sub_f32_e32 v54, v16, v10
	v_add_f32_e32 v49, v8, v18
	v_add_f32_e32 v69, v9, v19
	v_sub_f32_e32 v64, v33, v15
	v_mul_f32_e32 v104, 0xbe8c1d8e, v70
	v_mul_f32_e32 v93, 0x3eb8f4ab, v65
	v_fmamk_f32 v3, v55, 0xbe3c28d5, v106
	v_fma_f32 v56, 0xbe8c1d8e, v50, -v95
	v_add_f32_e32 v1, v41, v1
	v_add_f32_e32 v0, v2, v0
	v_sub_f32_e32 v52, v18, v8
	v_add_f32_e32 v48, v14, v32
	v_mul_f32_e32 v103, 0x3f6eb680, v69
	v_mul_f32_e32 v94, 0xbf65296c, v64
	v_fmamk_f32 v2, v54, 0x3f763a35, v104
	v_fma_f32 v57, 0x3f6eb680, v49, -v93
	v_add_f32_e32 v1, v3, v1
	v_add_f32_e32 v0, v56, v0
	;; [unrolled: 1-line block ×3, first 2 shown]
	v_fmamk_f32 v3, v52, 0x3eb8f4ab, v103
	v_fma_f32 v56, 0x3ee437d1, v48, -v94
	v_add_f32_e32 v1, v2, v1
	v_add_f32_e32 v0, v57, v0
	v_sub_f32_e32 v57, v32, v14
	v_mul_f32_e32 v102, 0x3ee437d1, v72
	v_sub_f32_e32 v71, v35, v13
	v_add_f32_e32 v1, v3, v1
	v_add_f32_e32 v0, v56, v0
	;; [unrolled: 1-line block ×3, first 2 shown]
	v_fmamk_f32 v2, v57, 0xbf65296c, v102
	v_mul_f32_e32 v96, 0xbf06c442, v71
	v_sub_f32_e32 v73, v29, v27
	v_add_f32_e32 v60, v26, v28
	v_mul_f32_e32 v112, 0xbf763a35, v68
	v_add_f32_e32 v1, v2, v1
	v_fma_f32 v2, 0xbf59a7d5, v56, -v96
	v_mul_f32_e32 v99, 0x3f4c4adb, v73
	v_mul_f32_e32 v122, 0xbe8c1d8e, v76
	;; [unrolled: 1-line block ×4, first 2 shown]
	v_add_f32_e32 v0, v2, v0
	v_fma_f32 v2, 0xbf1a4643, v60, -v99
	v_fmamk_f32 v80, v59, 0xbf763a35, v122
	v_fma_f32 v81, 0xbf59a7d5, v51, -v118
	v_mul_f32_e32 v117, 0x3f2c7751, v66
	v_fmamk_f32 v82, v55, 0x3f06c442, v124
	v_add_f32_e32 v0, v2, v0
	v_fma_f32 v2, 0xbe8c1d8e, v53, -v112
	v_add_f32_e32 v80, v41, v80
	v_mul_f32_e32 v123, 0x3f3d2fb0, v70
	v_mul_f32_e32 v115, 0xbf65296c, v65
	;; [unrolled: 1-line block ×3, first 2 shown]
	v_add_f32_e32 v2, v40, v2
	v_add_f32_e32 v80, v82, v80
	v_fmamk_f32 v82, v54, 0x3f2c7751, v123
	v_add_f32_e32 v74, v13, v35
	v_mul_f32_e32 v114, 0xbe3c28d5, v64
	v_add_f32_e32 v2, v81, v2
	v_fma_f32 v81, 0x3f3d2fb0, v50, -v117
	v_add_f32_e32 v80, v82, v80
	v_fmamk_f32 v82, v52, 0xbf65296c, v121
	v_mul_f32_e32 v120, 0xbf7ba420, v72
	v_sub_f32_e32 v58, v34, v12
	v_add_f32_e32 v2, v81, v2
	v_fma_f32 v81, 0x3ee437d1, v49, -v115
	v_mul_f32_e32 v101, 0xbf59a7d5, v74
	v_add_f32_e32 v78, v27, v29
	v_mul_f32_e32 v113, 0x3f7ee86f, v71
	v_add_f32_e32 v80, v82, v80
	v_add_f32_e32 v2, v81, v2
	v_fma_f32 v81, 0xbf7ba420, v48, -v114
	v_fmamk_f32 v82, v57, 0xbe3c28d5, v120
	v_mul_f32_e32 v119, 0x3dbcf732, v74
	v_fmamk_f32 v3, v58, 0xbf06c442, v101
	v_sub_f32_e32 v61, v28, v26
	v_mul_f32_e32 v105, 0xbf1a4643, v78
	v_sub_f32_e32 v77, v31, v25
	v_add_f32_e32 v79, v25, v31
	v_add_f32_e32 v2, v81, v2
	v_fma_f32 v81, 0x3dbcf732, v56, -v113
	v_mul_f32_e32 v111, 0xbeb8f4ab, v73
	v_add_f32_e32 v80, v82, v80
	v_fmamk_f32 v82, v58, 0x3f7ee86f, v119
	v_mul_f32_e32 v116, 0x3f6eb680, v78
	v_add_f32_e32 v1, v3, v1
	v_fmamk_f32 v3, v61, 0x3f4c4adb, v105
	v_add_f32_e32 v62, v24, v30
	v_sub_f32_e32 v63, v30, v24
	v_mul_f32_e32 v100, 0x3f2c7751, v77
	v_mul_f32_e32 v108, 0x3f3d2fb0, v79
	v_add_f32_e32 v2, v81, v2
	v_fma_f32 v81, 0x3f6eb680, v60, -v111
	v_mul_f32_e32 v109, 0xbf4c4adb, v77
	v_add_f32_e32 v80, v82, v80
	v_fmamk_f32 v82, v61, 0xbeb8f4ab, v116
	v_mul_f32_e32 v110, 0xbf1a4643, v79
	v_add_f32_e32 v1, v3, v1
	v_fma_f32 v3, 0x3f3d2fb0, v62, -v100
	v_fmamk_f32 v83, v63, 0x3f2c7751, v108
	v_add_f32_e32 v81, v81, v2
	v_fma_f32 v84, 0xbf1a4643, v62, -v109
	v_add_f32_e32 v80, v82, v80
	v_fmamk_f32 v82, v63, 0xbf4c4adb, v110
	v_add_f32_e32 v2, v3, v0
	v_add_f32_e32 v3, v83, v1
	;; [unrolled: 1-line block ×4, first 2 shown]
	v_cmpx_gt_u32_e32 26, v36
	s_cbranch_execz .LBB0_12
; %bb.11:
	v_mul_f32_e32 v89, 0xbf7ba420, v76
	v_mul_f32_e32 v85, 0x3f6eb680, v75
	;; [unrolled: 1-line block ×5, first 2 shown]
	v_fmamk_f32 v86, v59, 0x3e3c28d5, v89
	v_fmamk_f32 v87, v55, 0xbeb8f4ab, v85
	;; [unrolled: 1-line block ×3, first 2 shown]
	v_mul_f32_e32 v81, 0xbf1a4643, v72
	v_mul_f32_e32 v92, 0x3eb8f4ab, v67
	v_add_f32_e32 v88, v41, v86
	v_fmamk_f32 v90, v53, 0xbf7ba420, v91
	v_fmamk_f32 v127, v52, 0xbf2c7751, v83
	v_mul_f32_e32 v80, 0x3ee437d1, v74
	v_mul_f32_e32 v86, 0xbf06c442, v66
	v_add_f32_e32 v88, v87, v88
	v_fmamk_f32 v126, v51, 0x3f6eb680, v92
	v_add_f32_e32 v90, v40, v90
	v_fmamk_f32 v129, v57, 0x3f4c4adb, v81
	v_mul_f32_e32 v82, 0xbe8c1d8e, v78
	v_add_f32_e32 v125, v125, v88
	v_mul_f32_e32 v87, 0x3f2c7751, v65
	v_fmamk_f32 v128, v50, 0xbf59a7d5, v86
	v_add_f32_e32 v126, v126, v90
	v_fmamk_f32 v130, v58, 0xbf65296c, v80
	v_add_f32_e32 v125, v127, v125
	v_mul_f32_e32 v88, 0xbf4c4adb, v64
	v_fmamk_f32 v127, v49, 0x3f3d2fb0, v87
	v_add_f32_e32 v126, v128, v126
	v_add_f32_e32 v21, v41, v21
	;; [unrolled: 1-line block ×3, first 2 shown]
	v_fmamk_f32 v131, v61, 0x3f763a35, v82
	v_add_f32_e32 v20, v40, v20
	v_mul_f32_e32 v128, 0xbf59a7d5, v76
	v_mul_f32_e32 v90, 0x3f65296c, v71
	v_add_f32_e32 v125, v130, v125
	v_fmamk_f32 v129, v48, 0xbf1a4643, v88
	v_add_f32_e32 v126, v127, v126
	v_add_f32_e32 v21, v21, v23
	;; [unrolled: 1-line block ×4, first 2 shown]
	v_fmamk_f32 v22, v59, 0x3f06c442, v128
	v_mul_f32_e32 v131, 0x3ee437d1, v75
	v_fmamk_f32 v127, v56, 0x3ee437d1, v90
	v_add_f32_e32 v129, v129, v126
	v_mul_f32_e32 v125, 0x3dbcf732, v79
	v_mul_f32_e32 v126, 0xbf763a35, v73
	v_add_f32_e32 v17, v21, v17
	v_add_f32_e32 v16, v20, v16
	;; [unrolled: 1-line block ×3, first 2 shown]
	v_fmamk_f32 v21, v55, 0xbf65296c, v131
	v_mul_f32_e32 v132, 0x3dbcf732, v70
	v_add_f32_e32 v23, v127, v129
	v_fmamk_f32 v22, v60, 0xbe8c1d8e, v126
	v_mul_f32_e32 v127, 0x3f7ee86f, v77
	v_add_f32_e32 v19, v17, v19
	v_add_f32_e32 v17, v21, v20
	v_fmamk_f32 v20, v54, 0x3f7ee86f, v132
	v_fmamk_f32 v21, v63, 0xbf7ee86f, v125
	v_mul_f32_e32 v129, 0xbf06c442, v68
	v_add_f32_e32 v18, v16, v18
	v_add_f32_e32 v22, v22, v23
	v_fmamk_f32 v23, v62, 0x3dbcf732, v127
	v_add_f32_e32 v20, v20, v17
	v_add_f32_e32 v17, v21, v130
	v_fmamk_f32 v21, v53, 0xbf59a7d5, v129
	v_mul_f32_e32 v130, 0x3f65296c, v67
	v_add_f32_e32 v19, v19, v33
	v_add_f32_e32 v18, v18, v32
	;; [unrolled: 1-line block ×4, first 2 shown]
	v_fmamk_f32 v22, v51, 0x3ee437d1, v130
	v_mul_f32_e32 v32, 0xbf7ee86f, v66
	v_add_f32_e32 v19, v19, v35
	v_add_f32_e32 v18, v18, v34
	v_mul_f32_e32 v133, 0xbf1a4643, v69
	v_add_f32_e32 v21, v22, v21
	v_fmamk_f32 v22, v50, 0x3dbcf732, v32
	v_add_f32_e32 v19, v19, v29
	v_add_f32_e32 v18, v18, v28
	v_mul_f32_e32 v28, 0x3f4c4adb, v65
	v_fmamk_f32 v134, v52, 0xbf4c4adb, v133
	v_mul_f32_e32 v33, 0x3f6eb680, v72
	v_add_f32_e32 v21, v22, v21
	v_add_f32_e32 v19, v19, v31
	v_add_f32_e32 v18, v18, v30
	v_fmamk_f32 v22, v49, 0xbf1a4643, v28
	v_mul_f32_e32 v29, 0xbeb8f4ab, v64
	v_add_f32_e32 v20, v134, v20
	v_fmamk_f32 v23, v57, 0x3eb8f4ab, v33
	v_mul_f32_e32 v34, 0xbf7ba420, v74
	v_add_f32_e32 v19, v19, v25
	v_add_f32_e32 v18, v18, v24
	;; [unrolled: 1-line block ×3, first 2 shown]
	v_fmamk_f32 v22, v48, 0x3f6eb680, v29
	v_mul_f32_e32 v134, 0xbf1a4643, v76
	v_add_f32_e32 v20, v23, v20
	v_add_f32_e32 v24, v19, v27
	;; [unrolled: 1-line block ×3, first 2 shown]
	v_fmamk_f32 v18, v58, 0x3e3c28d5, v34
	v_mul_f32_e32 v135, 0x3f3d2fb0, v78
	v_add_f32_e32 v19, v22, v21
	v_fmamk_f32 v21, v59, 0x3f4c4adb, v134
	v_mul_f32_e32 v27, 0xbe8c1d8e, v75
	v_add_f32_e32 v18, v18, v20
	v_mul_f32_e32 v31, 0x3f6eb680, v70
	v_fmamk_f32 v23, v61, 0xbf2c7751, v135
	v_add_f32_e32 v20, v41, v21
	v_fmamk_f32 v21, v55, 0xbf763a35, v27
	v_mul_f32_e32 v141, 0xbf4c4adb, v68
	v_mul_f32_e32 v30, 0xbe3c28d5, v71
	;; [unrolled: 1-line block ×3, first 2 shown]
	v_add_f32_e32 v18, v23, v18
	v_add_f32_e32 v20, v21, v20
	v_fmamk_f32 v21, v54, 0x3eb8f4ab, v31
	v_fmamk_f32 v23, v53, 0xbf1a4643, v141
	v_mul_f32_e32 v142, 0x3f763a35, v67
	v_fmamk_f32 v22, v56, 0xbf7ba420, v30
	v_mul_f32_e32 v26, 0x3f2c7751, v73
	v_add_f32_e32 v20, v21, v20
	v_fmamk_f32 v21, v52, 0x3f06c442, v136
	v_mul_f32_e32 v137, 0x3dbcf732, v72
	v_add_f32_e32 v23, v40, v23
	;; [unrolled: 3-line block ×3, first 2 shown]
	v_fmamk_f32 v22, v60, 0x3f3d2fb0, v26
	v_add_f32_e32 v20, v21, v20
	v_fmamk_f32 v21, v57, 0xbf7ee86f, v137
	v_add_f32_e32 v23, v25, v23
	v_fmamk_f32 v25, v50, 0x3f6eb680, v143
	v_mul_f32_e32 v144, 0xbf06c442, v65
	v_mul_f32_e32 v138, 0xbe8c1d8e, v79
	v_add_f32_e32 v22, v22, v19
	v_mul_f32_e32 v140, 0x3f3d2fb0, v74
	v_add_f32_e32 v19, v21, v20
	v_add_f32_e32 v20, v25, v23
	v_fmamk_f32 v21, v49, 0xbf59a7d5, v144
	v_mul_f32_e32 v145, 0x3f7ee86f, v64
	v_fmamk_f32 v147, v63, 0x3f763a35, v138
	v_fmamk_f32 v23, v58, 0x3f2c7751, v140
	v_mul_f32_e32 v139, 0xbf7ba420, v78
	v_add_f32_e32 v20, v21, v20
	v_fmamk_f32 v21, v48, 0x3dbcf732, v145
	v_mul_f32_e32 v146, 0xbf2c7751, v71
	v_add_f32_e32 v23, v23, v19
	v_fmamk_f32 v148, v61, 0x3e3c28d5, v139
	v_add_f32_e32 v19, v147, v18
	v_add_f32_e32 v18, v21, v20
	v_mul_f32_e32 v20, 0xbf763a35, v59
	v_mul_f32_e32 v35, 0xbf763a35, v77
	v_fmamk_f32 v21, v56, 0x3f3d2fb0, v146
	v_add_f32_e32 v23, v148, v23
	v_mul_f32_e32 v147, 0xbe3c28d5, v73
	v_mul_f32_e32 v150, 0x3f06c442, v55
	v_sub_f32_e32 v20, v122, v20
	v_mul_f32_e32 v148, 0x3ee437d1, v79
	v_fmamk_f32 v25, v62, 0xbe8c1d8e, v35
	v_add_f32_e32 v21, v21, v18
	v_fmamk_f32 v122, v60, 0xbf7ba420, v147
	v_sub_f32_e32 v124, v124, v150
	v_add_f32_e32 v20, v41, v20
	v_mul_f32_e32 v150, 0x3f2c7751, v54
	v_fmamk_f32 v151, v63, 0xbf65296c, v148
	v_add_f32_e32 v18, v25, v22
	v_add_f32_e32 v22, v122, v21
	;; [unrolled: 1-line block ×3, first 2 shown]
	v_sub_f32_e32 v25, v123, v150
	v_add_f32_e32 v21, v151, v23
	v_mul_f32_e32 v23, 0xbe8c1d8e, v53
	v_mul_f32_e32 v123, 0xbf65296c, v52
	;; [unrolled: 1-line block ×3, first 2 shown]
	v_add_f32_e32 v20, v25, v20
	v_mul_f32_e32 v25, 0xbf59a7d5, v51
	v_add_f32_e32 v23, v23, v112
	v_sub_f32_e32 v112, v121, v123
	v_fmamk_f32 v121, v62, 0x3ee437d1, v122
	v_mul_f32_e32 v123, 0xbe3c28d5, v57
	v_add_f32_e32 v25, v25, v118
	v_add_f32_e32 v23, v40, v23
	v_mul_f32_e32 v118, 0x3f3d2fb0, v50
	v_add_f32_e32 v112, v112, v20
	v_sub_f32_e32 v120, v120, v123
	v_add_f32_e32 v20, v121, v22
	v_add_f32_e32 v22, v25, v23
	v_mul_f32_e32 v23, 0x3f7ee86f, v58
	v_add_f32_e32 v25, v118, v117
	v_mul_f32_e32 v117, 0xbf7ee86f, v59
	v_add_f32_e32 v112, v120, v112
	v_mul_f32_e32 v118, 0x3ee437d1, v49
	v_sub_f32_e32 v23, v119, v23
	v_add_f32_e32 v22, v25, v22
	v_mul_f32_e32 v25, 0xbe3c28d5, v55
	v_sub_f32_e32 v107, v107, v117
	v_add_f32_e32 v115, v118, v115
	v_add_f32_e32 v23, v23, v112
	v_mul_f32_e32 v112, 0xbf7ba420, v48
	v_sub_f32_e32 v25, v106, v25
	v_add_f32_e32 v106, v41, v107
	v_mul_f32_e32 v107, 0x3f763a35, v54
	v_add_f32_e32 v22, v115, v22
	v_add_f32_e32 v112, v112, v114
	v_mul_f32_e32 v114, 0xbeb8f4ab, v61
	v_add_f32_e32 v25, v25, v106
	v_mul_f32_e32 v106, 0x3dbcf732, v56
	v_sub_f32_e32 v104, v104, v107
	v_mul_f32_e32 v107, 0x3eb8f4ab, v52
	v_add_f32_e32 v22, v112, v22
	v_mul_f32_e32 v112, 0xbf7ba420, v51
	v_add_f32_e32 v106, v106, v113
	v_add_f32_e32 v25, v104, v25
	v_mul_f32_e32 v104, 0x3dbcf732, v53
	v_sub_f32_e32 v103, v103, v107
	v_add_f32_e32 v97, v112, v97
	v_add_f32_e32 v22, v106, v22
	v_mul_f32_e32 v106, 0xbf65296c, v57
	v_add_f32_e32 v98, v104, v98
	v_add_f32_e32 v25, v103, v25
	v_mul_f32_e32 v104, 0xbe8c1d8e, v50
	v_mul_f32_e32 v107, 0x3f6eb680, v60
	v_sub_f32_e32 v102, v102, v106
	v_add_f32_e32 v98, v40, v98
	v_mul_f32_e32 v106, 0xbf06c442, v58
	v_add_f32_e32 v95, v104, v95
	v_add_f32_e32 v103, v107, v111
	;; [unrolled: 1-line block ×4, first 2 shown]
	v_sub_f32_e32 v98, v101, v106
	v_mul_f32_e32 v101, 0x3f6eb680, v49
	v_sub_f32_e32 v114, v116, v114
	v_mul_f32_e32 v102, 0xbf4c4adb, v63
	v_add_f32_e32 v95, v95, v97
	v_mul_f32_e32 v97, 0x3f4c4adb, v61
	v_add_f32_e32 v93, v101, v93
	v_add_f32_e32 v25, v98, v25
	v_mul_f32_e32 v98, 0x3ee437d1, v48
	v_mul_f32_e32 v101, 0xbf1a4643, v62
	v_sub_f32_e32 v97, v105, v97
	v_add_f32_e32 v93, v93, v95
	v_mul_f32_e32 v95, 0xbf59a7d5, v56
	v_add_f32_e32 v94, v98, v94
	v_add_f32_e32 v98, v101, v109
	v_mul_f32_e32 v101, 0x3ee437d1, v76
	v_add_f32_e32 v25, v97, v25
	v_mul_f32_e32 v97, 0xbf1a4643, v60
	v_add_f32_e32 v93, v94, v93
	v_add_f32_e32 v94, v95, v96
	v_fmamk_f32 v95, v59, 0x3f65296c, v101
	v_mul_f32_e32 v96, 0xbf1a4643, v75
	v_add_f32_e32 v97, v97, v99
	v_add_f32_e32 v22, v103, v22
	;; [unrolled: 1-line block ×4, first 2 shown]
	v_fmamk_f32 v95, v55, 0x3f4c4adb, v96
	v_mul_f32_e32 v104, 0xbf7ba420, v70
	v_add_f32_e32 v23, v114, v23
	v_add_f32_e32 v93, v97, v93
	v_mul_f32_e32 v97, 0xbf65296c, v68
	v_sub_f32_e32 v102, v110, v102
	v_mul_f32_e32 v103, 0x3f2c7751, v63
	v_add_f32_e32 v94, v95, v94
	v_fmamk_f32 v95, v54, 0xbe3c28d5, v104
	v_add_f32_e32 v22, v98, v22
	v_add_f32_e32 v13, v24, v13
	v_fmamk_f32 v24, v53, 0x3ee437d1, v97
	v_mul_f32_e32 v98, 0xbf4c4adb, v67
	v_sub_f32_e32 v103, v108, v103
	v_mul_f32_e32 v99, 0x3f3d2fb0, v62
	v_add_f32_e32 v23, v102, v23
	v_add_f32_e32 v94, v95, v94
	;; [unrolled: 1-line block ×3, first 2 shown]
	v_mul_f32_e32 v95, 0xbe8c1d8e, v69
	v_add_f32_e32 v13, v13, v15
	v_add_f32_e32 v15, v40, v24
	v_fmamk_f32 v24, v51, 0xbf1a4643, v98
	v_mul_f32_e32 v102, 0x3e3c28d5, v66
	v_add_f32_e32 v25, v103, v25
	v_add_f32_e32 v12, v12, v14
	v_fmamk_f32 v14, v52, 0xbf763a35, v95
	;; [unrolled: 4-line block ×3, first 2 shown]
	v_add_f32_e32 v14, v14, v94
	v_fmamk_f32 v94, v57, 0xbf2c7751, v103
	v_add_f32_e32 v9, v13, v9
	v_add_f32_e32 v8, v12, v8
	v_mul_f32_e32 v100, 0x3f763a35, v65
	v_add_f32_e32 v12, v24, v15
	v_add_f32_e32 v24, v99, v93
	v_mul_f32_e32 v93, 0x3f3d2fb0, v76
	v_add_f32_e32 v9, v9, v11
	v_add_f32_e32 v8, v8, v10
	v_fmamk_f32 v10, v49, 0xbe8c1d8e, v100
	v_mul_f32_e32 v106, 0x3f2c7751, v64
	v_add_f32_e32 v11, v94, v14
	v_fmamk_f32 v14, v59, 0x3f2c7751, v93
	v_mul_f32_e32 v99, 0x3dbcf732, v75
	v_add_f32_e32 v10, v10, v12
	v_fmamk_f32 v12, v48, 0x3f3d2fb0, v106
	v_mul_f32_e32 v107, 0xbeb8f4ab, v71
	v_add_f32_e32 v5, v9, v5
	v_add_f32_e32 v4, v8, v4
	;; [unrolled: 1-line block ×3, first 2 shown]
	v_fmamk_f32 v9, v55, 0x3f7ee86f, v99
	v_mul_f32_e32 v111, 0xbf2c7751, v68
	v_mul_f32_e32 v105, 0x3f6eb680, v74
	v_add_f32_e32 v10, v12, v10
	v_fmamk_f32 v12, v56, 0x3f6eb680, v107
	v_mul_f32_e32 v109, 0xbf1a4643, v70
	v_add_f32_e32 v5, v5, v7
	v_add_f32_e32 v7, v9, v8
	v_fmamk_f32 v9, v53, 0x3f3d2fb0, v111
	v_mul_f32_e32 v113, 0xbf7ee86f, v67
	v_fmamk_f32 v13, v58, 0x3eb8f4ab, v105
	v_mul_f32_e32 v94, 0x3dbcf732, v78
	v_mul_f32_e32 v108, 0xbf7ee86f, v73
	v_add_f32_e32 v10, v12, v10
	v_fmamk_f32 v8, v54, 0x3f4c4adb, v109
	v_mul_f32_e32 v112, 0xbf7ba420, v69
	v_add_f32_e32 v9, v40, v9
	v_fmamk_f32 v12, v51, 0x3dbcf732, v113
	;; [unrolled: 3-line block ×4, first 2 shown]
	v_add_f32_e32 v7, v8, v7
	v_fmamk_f32 v8, v52, 0x3e3c28d5, v112
	v_mul_f32_e32 v116, 0xbf59a7d5, v72
	v_add_f32_e32 v9, v12, v9
	v_fmamk_f32 v12, v50, 0xbf1a4643, v115
	v_mul_f32_e32 v117, 0xbe3c28d5, v65
	v_add_f32_e32 v11, v13, v11
	v_fmamk_f32 v13, v63, 0x3f06c442, v110
	v_add_f32_e32 v6, v6, v10
	v_add_f32_e32 v8, v8, v7
	v_fmamk_f32 v10, v57, 0xbf06c442, v116
	v_add_f32_e32 v9, v12, v9
	v_fmamk_f32 v12, v49, 0xbf7ba420, v117
	v_mul_f32_e32 v118, 0x3f06c442, v64
	v_mul_f32_e32 v119, 0xbe8c1d8e, v74
	v_add_f32_e32 v7, v13, v11
	v_mul_f32_e32 v120, 0x3f763a35, v71
	v_add_f32_e32 v9, v12, v9
	v_fmamk_f32 v11, v48, 0xbf59a7d5, v118
	v_add_f32_e32 v8, v10, v8
	v_fmamk_f32 v10, v58, 0xbf763a35, v119
	v_mul_f32_e32 v121, 0x3ee437d1, v78
	v_mul_f32_e32 v123, 0x3f65296c, v73
	v_add_f32_e32 v9, v11, v9
	v_fmamk_f32 v11, v56, 0xbe8c1d8e, v120
	v_add_f32_e32 v8, v10, v8
	v_fmamk_f32 v10, v61, 0xbf65296c, v121
	v_mul_f32_e32 v124, 0x3f6eb680, v79
	v_mul_f32_e32 v76, 0x3f6eb680, v76
	;; [unrolled: 1-line block ×3, first 2 shown]
	v_add_f32_e32 v9, v11, v9
	v_fmamk_f32 v11, v60, 0x3ee437d1, v123
	v_add_f32_e32 v8, v10, v8
	v_fmamk_f32 v10, v63, 0xbeb8f4ab, v124
	v_fmamk_f32 v12, v59, 0x3eb8f4ab, v76
	v_mul_f32_e32 v75, 0x3f3d2fb0, v75
	v_mul_f32_e32 v68, 0xbeb8f4ab, v68
	v_fmamk_f32 v14, v62, 0xbf59a7d5, v114
	v_add_f32_e32 v11, v11, v9
	v_add_f32_e32 v9, v10, v8
	;; [unrolled: 1-line block ×3, first 2 shown]
	v_fmamk_f32 v10, v55, 0x3f2c7751, v75
	v_mul_f32_e32 v70, 0x3ee437d1, v70
	v_fmamk_f32 v13, v53, 0x3f6eb680, v68
	v_mul_f32_e32 v67, 0xbf2c7751, v67
	v_add_f32_e32 v6, v14, v6
	v_add_f32_e32 v8, v10, v8
	v_fmamk_f32 v10, v54, 0x3f65296c, v70
	v_mul_f32_e32 v69, 0x3dbcf732, v69
	v_add_f32_e32 v13, v40, v13
	v_fmamk_f32 v14, v51, 0x3f3d2fb0, v67
	v_mul_f32_e32 v66, 0xbf65296c, v66
	;; [unrolled: 3-line block ×4, first 2 shown]
	v_mul_f32_e32 v149, 0x3eb8f4ab, v77
	v_add_f32_e32 v8, v10, v8
	v_fmamk_f32 v10, v57, 0x3f763a35, v72
	v_mul_f32_e32 v74, 0xbf1a4643, v74
	v_add_f32_e32 v13, v14, v13
	v_fmamk_f32 v14, v49, 0x3dbcf732, v65
	v_mul_f32_e32 v64, 0xbf763a35, v64
	v_fmamk_f32 v12, v62, 0x3f6eb680, v149
	v_add_f32_e32 v8, v10, v8
	v_fmamk_f32 v10, v58, 0x3f4c4adb, v74
	v_mul_f32_e32 v78, 0xbf59a7d5, v78
	v_add_f32_e32 v13, v14, v13
	v_fmamk_f32 v14, v48, 0xbe8c1d8e, v64
	v_mul_f32_e32 v71, 0xbf4c4adb, v71
	v_add_f32_e32 v10, v10, v8
	v_fmamk_f32 v15, v61, 0x3f06c442, v78
	v_add_f32_e32 v8, v12, v11
	v_add_f32_e32 v11, v14, v13
	v_fmamk_f32 v12, v56, 0xbf1a4643, v71
	v_mul_f32_e32 v73, 0xbf06c442, v73
	v_mul_f32_e32 v79, 0xbf7ba420, v79
	v_fmac_f32_e32 v89, 0xbe3c28d5, v59
	v_add_f32_e32 v10, v15, v10
	v_add_f32_e32 v11, v12, v11
	v_fmamk_f32 v12, v60, 0xbf59a7d5, v73
	v_mul_f32_e32 v77, 0xbe3c28d5, v77
	v_fmamk_f32 v13, v63, 0x3e3c28d5, v79
	v_add_f32_e32 v14, v41, v89
	v_fmac_f32_e32 v85, 0x3eb8f4ab, v55
	v_add_f32_e32 v12, v12, v11
	v_fma_f32 v15, 0xbf7ba420, v53, -v91
	v_add_f32_e32 v11, v13, v10
	v_fmamk_f32 v10, v62, 0xbf7ba420, v77
	v_add_f32_e32 v13, v85, v14
	v_fmac_f32_e32 v84, 0xbf06c442, v54
	v_add_f32_e32 v14, v40, v15
	v_fma_f32 v15, 0x3f6eb680, v51, -v92
	v_add_f32_e32 v10, v10, v12
	v_fmac_f32_e32 v128, 0xbf06c442, v59
	v_add_f32_e32 v12, v84, v13
	v_fmac_f32_e32 v83, 0x3f2c7751, v52
	v_add_f32_e32 v13, v15, v14
	v_fma_f32 v14, 0xbf59a7d5, v50, -v86
	v_add_f32_e32 v15, v41, v128
	v_fmac_f32_e32 v131, 0x3f65296c, v55
	;; [unrolled: 6-line block ×6, first 2 shown]
	v_add_f32_e32 v13, v125, v12
	v_fma_f32 v12, 0xbf59a7d5, v53, -v129
	v_add_f32_e32 v14, v80, v14
	v_fma_f32 v33, 0x3dbcf732, v62, -v127
	v_add_f32_e32 v15, v34, v15
	v_fmac_f32_e32 v135, 0x3f2c7751, v61
	v_add_f32_e32 v34, v40, v12
	v_fma_f32 v80, 0x3ee437d1, v51, -v130
	v_fmac_f32_e32 v134, 0xbf4c4adb, v59
	v_add_f32_e32 v12, v33, v14
	v_add_f32_e32 v14, v135, v15
	v_fmac_f32_e32 v138, 0xbf763a35, v63
	v_add_f32_e32 v33, v80, v34
	v_fma_f32 v32, 0x3dbcf732, v50, -v32
	v_add_f32_e32 v34, v41, v134
	v_fmac_f32_e32 v27, 0x3f763a35, v55
	v_add_f32_e32 v15, v138, v14
	v_fma_f32 v14, 0xbf1a4643, v53, -v141
	v_add_f32_e32 v32, v32, v33
	v_fma_f32 v28, 0xbf1a4643, v49, -v28
	v_add_f32_e32 v27, v27, v34
	v_fmac_f32_e32 v31, 0xbeb8f4ab, v54
	v_add_f32_e32 v14, v40, v14
	v_fma_f32 v33, 0xbe8c1d8e, v51, -v142
	;; [unrolled: 6-line block ×6, first 2 shown]
	v_add_f32_e32 v14, v28, v26
	v_fmac_f32_e32 v101, 0xbf65296c, v59
	v_add_f32_e32 v26, v139, v27
	v_fmac_f32_e32 v148, 0x3f65296c, v63
	v_add_f32_e32 v28, v30, v29
	v_fma_f32 v29, 0xbf7ba420, v60, -v147
	v_add_f32_e32 v30, v41, v101
	v_fmac_f32_e32 v96, 0xbf4c4adb, v55
	v_add_f32_e32 v27, v148, v26
	v_fma_f32 v26, 0x3ee437d1, v53, -v97
	v_add_f32_e32 v28, v29, v28
	v_fma_f32 v29, 0x3ee437d1, v62, -v122
	v_add_f32_e32 v30, v96, v30
	v_fmac_f32_e32 v104, 0x3e3c28d5, v54
	v_add_f32_e32 v31, v40, v26
	v_fma_f32 v32, 0xbf1a4643, v51, -v98
	v_fmac_f32_e32 v93, 0xbf2c7751, v59
	v_add_f32_e32 v26, v29, v28
	v_add_f32_e32 v28, v104, v30
	v_fmac_f32_e32 v95, 0x3f763a35, v52
	v_add_f32_e32 v29, v32, v31
	v_fma_f32 v30, 0xbf7ba420, v50, -v102
	v_add_f32_e32 v31, v41, v93
	v_fmac_f32_e32 v99, 0xbf7ee86f, v55
	v_add_f32_e32 v28, v95, v28
	v_fmac_f32_e32 v103, 0x3f2c7751, v57
	v_add_f32_e32 v29, v30, v29
	v_fma_f32 v30, 0xbe8c1d8e, v49, -v100
	v_add_f32_e32 v31, v99, v31
	v_fmac_f32_e32 v109, 0xbf4c4adb, v54
	;; [unrolled: 6-line block ×5, first 2 shown]
	v_add_f32_e32 v29, v110, v28
	v_fma_f32 v28, 0x3f3d2fb0, v53, -v111
	v_add_f32_e32 v30, v32, v30
	v_fma_f32 v32, 0xbf59a7d5, v62, -v114
	v_add_f32_e32 v31, v119, v31
	v_fmac_f32_e32 v121, 0x3f65296c, v61
	v_add_f32_e32 v33, v40, v28
	v_fma_f32 v34, 0x3dbcf732, v51, -v113
	v_add_f32_e32 v28, v32, v30
	v_fmac_f32_e32 v76, 0xbeb8f4ab, v59
	v_add_f32_e32 v30, v121, v31
	v_fma_f32 v31, 0x3f6eb680, v53, -v68
	v_add_f32_e32 v32, v34, v33
	v_fma_f32 v33, 0xbf1a4643, v50, -v115
	v_add_f32_e32 v34, v41, v76
	v_fmac_f32_e32 v75, 0xbf2c7751, v55
	v_add_f32_e32 v31, v40, v31
	v_fma_f32 v35, 0x3f3d2fb0, v51, -v67
	v_add_f32_e32 v32, v33, v32
	v_fma_f32 v33, 0xbf7ba420, v49, -v117
	v_add_f32_e32 v34, v75, v34
	v_fmac_f32_e32 v70, 0xbf65296c, v54
	v_add_f32_e32 v31, v35, v31
	v_fma_f32 v35, 0x3ee437d1, v50, -v66
	v_add_f32_e32 v32, v33, v32
	v_fma_f32 v33, 0xbf59a7d5, v48, -v118
	v_add_f32_e32 v34, v70, v34
	v_fmac_f32_e32 v69, 0xbf7ee86f, v52
	v_add_f32_e32 v31, v35, v31
	v_fma_f32 v35, 0x3dbcf732, v49, -v65
	v_add_f32_e32 v32, v33, v32
	v_fma_f32 v33, 0xbe8c1d8e, v56, -v120
	v_add_f32_e32 v34, v69, v34
	v_fmac_f32_e32 v72, 0xbf763a35, v57
	v_add_f32_e32 v31, v35, v31
	v_fma_f32 v35, 0xbe8c1d8e, v48, -v64
	v_add_f32_e32 v32, v33, v32
	v_fma_f32 v33, 0x3ee437d1, v60, -v123
	v_add_f32_e32 v34, v72, v34
	v_fmac_f32_e32 v74, 0xbf4c4adb, v58
	v_add_f32_e32 v31, v35, v31
	v_fma_f32 v35, 0xbf1a4643, v56, -v71
	v_add_f32_e32 v32, v33, v32
	v_fmac_f32_e32 v78, 0xbf06c442, v61
	v_add_f32_e32 v33, v74, v34
	v_fma_f32 v34, 0xbf59a7d5, v60, -v73
	v_add_f32_e32 v31, v35, v31
	v_mul_u32_u24_e32 v40, 0x88, v36
	v_fmac_f32_e32 v124, 0x3eb8f4ab, v63
	v_fma_f32 v35, 0x3f6eb680, v62, -v149
	v_add_f32_e32 v33, v78, v33
	v_fmac_f32_e32 v79, 0xbe3c28d5, v63
	v_add_f32_e32 v34, v34, v31
	v_fma_f32 v41, 0xbf7ba420, v62, -v77
	v_add3_u32 v40, 0, v40, v45
	v_add_f32_e32 v31, v124, v30
	v_add_f32_e32 v30, v35, v32
	;; [unrolled: 1-line block ×4, first 2 shown]
	ds_write2_b64 v40, v[4:5], v[10:11] offset1:1
	ds_write2_b64 v40, v[8:9], v[6:7] offset0:2 offset1:3
	ds_write2_b64 v40, v[24:25], v[22:23] offset0:4 offset1:5
	;; [unrolled: 1-line block ×7, first 2 shown]
	ds_write_b64 v40, v[32:33] offset:128
.LBB0_12:
	s_or_b32 exec_lo, exec_lo, s1
	s_waitcnt lgkmcnt(0)
	s_barrier
	buffer_gl0_inv
	ds_read2_b64 v[4:7], v44 offset0:170 offset1:221
	ds_read2_b64 v[8:11], v44 offset0:34 offset1:68
	;; [unrolled: 1-line block ×5, first 2 shown]
	ds_read_b64 v[26:27], v42
	ds_read_b64 v[24:25], v44 offset:3128
	v_cmp_gt_u32_e64 s0, 17, v36
	s_and_saveexec_b32 s1, s0
	s_cbranch_execz .LBB0_14
; %bb.13:
	v_add_nc_u32_e32 v0, 0x600, v44
	ds_read2_b64 v[0:3], v0 offset0:12 offset1:233
.LBB0_14:
	s_or_b32 exec_lo, exec_lo, s1
	v_add_nc_u16 v28, v36, 34
	v_add_nc_u16 v32, v36, 0x44
	v_subrev_nc_u32_e32 v29, 17, v36
	v_add_nc_u16 v33, v36, 0x66
	v_add_nc_u16 v35, v36, 0x88
	v_and_b32_e32 v31, 0xff, v28
	v_and_b32_e32 v41, 0xff, v32
	v_add_nc_u16 v40, v36, 0xaa
	v_mov_b32_e32 v30, 0
	v_cndmask_b32_e64 v29, v29, v36, s0
	v_mul_lo_u16 v34, 0xf1, v31
	v_mul_lo_u16 v41, 0xf1, v41
	v_and_b32_e32 v46, 0xff, v35
	v_and_b32_e32 v47, 0xff, v40
	v_lshlrev_b64 v[30:31], 3, v[29:30]
	v_lshrrev_b16 v50, 12, v34
	v_and_b32_e32 v34, 0xff, v33
	v_lshrrev_b16 v51, 12, v41
	v_mul_lo_u16 v41, 0xf1, v46
	v_mul_lo_u16 v46, 0xf1, v47
	v_add_co_u32 v30, s1, s8, v30
	v_mul_lo_u16 v34, 0xf1, v34
	v_add_co_ci_u32_e64 v31, s1, s9, v31, s1
	v_mul_lo_u16 v48, v50, 17
	v_lshrrev_b16 v53, 12, v41
	v_lshrrev_b16 v52, 12, v34
	v_mul_lo_u16 v34, v51, 17
	v_lshrrev_b16 v54, 12, v46
	v_sub_nc_u16 v47, v28, v48
	global_load_dwordx2 v[30:31], v[30:31], off
	v_mul_lo_u16 v41, v52, 17
	v_mov_b32_e32 v28, 3
	v_mul_lo_u16 v46, v53, 17
	v_sub_nc_u16 v32, v32, v34
	v_mul_lo_u16 v34, v54, 17
	v_sub_nc_u16 v33, v33, v41
	v_lshlrev_b32_sdwa v55, v28, v47 dst_sel:DWORD dst_unused:UNUSED_PAD src0_sel:DWORD src1_sel:BYTE_0
	v_sub_nc_u16 v35, v35, v46
	v_lshlrev_b32_sdwa v56, v28, v32 dst_sel:DWORD dst_unused:UNUSED_PAD src0_sel:DWORD src1_sel:BYTE_0
	;; [unrolled: 2-line block ×3, first 2 shown]
	global_load_dwordx2 v[32:33], v55, s[8:9]
	v_lshlrev_b32_sdwa v58, v28, v35 dst_sel:DWORD dst_unused:UNUSED_PAD src0_sel:DWORD src1_sel:BYTE_0
	global_load_dwordx2 v[34:35], v56, s[8:9]
	v_lshlrev_b32_sdwa v59, v28, v40 dst_sel:DWORD dst_unused:UNUSED_PAD src0_sel:DWORD src1_sel:BYTE_0
	s_clause 0x2
	global_load_dwordx2 v[40:41], v57, s[8:9]
	global_load_dwordx2 v[46:47], v58, s[8:9]
	;; [unrolled: 1-line block ×3, first 2 shown]
	v_cmp_lt_u32_e64 s1, 16, v36
	v_lshlrev_b32_e32 v29, 3, v29
	v_and_b32_e32 v53, 0xffff, v53
	v_and_b32_e32 v52, 0xffff, v52
	;; [unrolled: 1-line block ×3, first 2 shown]
	v_cndmask_b32_e64 v60, 0, 0x110, s1
	v_and_b32_e32 v50, 0xffff, v50
	v_and_b32_e32 v51, 0xffff, v51
	v_mad_u32_u24 v53, 0x110, v53, 0
	v_mad_u32_u24 v52, 0x110, v52, 0
	v_add_nc_u32_e32 v60, 0, v60
	v_mad_u32_u24 v54, 0x110, v54, 0
	v_mad_u32_u24 v50, 0x110, v50, 0
	v_mad_u32_u24 v51, 0x110, v51, 0
	s_waitcnt vmcnt(0) lgkmcnt(0)
	v_add3_u32 v29, v60, v29, v45
	s_barrier
	v_add3_u32 v50, v50, v55, v45
	v_add3_u32 v51, v51, v56, v45
	buffer_gl0_inv
	v_mul_f32_e32 v60, v31, v7
	v_mul_f32_e32 v31, v31, v6
	v_fmac_f32_e32 v60, v30, v6
	v_fma_f32 v7, v30, v7, -v31
	v_add3_u32 v31, v53, v58, v45
	v_add3_u32 v30, v52, v57, v45
	;; [unrolled: 1-line block ×3, first 2 shown]
	v_sub_f32_e32 v6, v26, v60
	v_sub_f32_e32 v7, v27, v7
	v_mul_f32_e32 v53, v33, v17
	v_mul_f32_e32 v33, v33, v16
	;; [unrolled: 1-line block ×10, first 2 shown]
	v_fma_f32 v26, v26, 2.0, -v6
	v_fma_f32 v27, v27, 2.0, -v7
	v_fmac_f32_e32 v53, v32, v16
	v_fma_f32 v16, v32, v17, -v33
	v_fmac_f32_e32 v54, v34, v18
	v_fma_f32 v17, v34, v19, -v35
	;; [unrolled: 2-line block ×5, first 2 shown]
	ds_write2_b64 v29, v[26:27], v[6:7] offset1:17
	v_sub_f32_e32 v6, v8, v53
	v_sub_f32_e32 v7, v9, v16
	;; [unrolled: 1-line block ×10, first 2 shown]
	v_fma_f32 v8, v8, 2.0, -v6
	v_fma_f32 v9, v9, 2.0, -v7
	;; [unrolled: 1-line block ×10, first 2 shown]
	ds_write2_b64 v50, v[8:9], v[6:7] offset1:17
	ds_write2_b64 v51, v[10:11], v[16:17] offset1:17
	;; [unrolled: 1-line block ×5, first 2 shown]
	s_and_saveexec_b32 s1, s0
	s_cbranch_execz .LBB0_16
; %bb.15:
	v_add_nc_u16 v4, v36, 0xcc
	v_and_b32_e32 v5, 0xff, v4
	v_mul_lo_u16 v5, 0xf1, v5
	v_lshrrev_b16 v5, 12, v5
	v_mul_lo_u16 v5, v5, 17
	v_sub_nc_u16 v4, v4, v5
	v_lshlrev_b32_sdwa v6, v28, v4 dst_sel:DWORD dst_unused:UNUSED_PAD src0_sel:DWORD src1_sel:BYTE_0
	global_load_dwordx2 v[4:5], v6, s[8:9]
	s_waitcnt vmcnt(0)
	v_mul_f32_e32 v7, v2, v5
	v_mul_f32_e32 v5, v3, v5
	v_fma_f32 v3, v3, v4, -v7
	v_fmac_f32_e32 v5, v2, v4
	v_add3_u32 v4, 0, v6, v45
	v_sub_f32_e32 v3, v1, v3
	v_sub_f32_e32 v2, v0, v5
	v_add_nc_u32_e32 v4, 0x800, v4
	v_fma_f32 v1, v1, 2.0, -v3
	v_fma_f32 v0, v0, 2.0, -v2
	ds_write2_b64 v4, v[0:1], v[2:3] offset0:152 offset1:169
.LBB0_16:
	s_or_b32 exec_lo, exec_lo, s1
	v_mul_u32_u24_e32 v0, 12, v36
	s_waitcnt lgkmcnt(0)
	s_barrier
	buffer_gl0_inv
	v_add_nc_u32_e32 v2, 0x800, v44
	v_lshlrev_b32_e32 v0, 3, v0
	s_add_u32 s4, s8, 0xd48
	s_addc_u32 s5, s9, 0
	s_mov_b32 s6, exec_lo
	s_clause 0x5
	global_load_dwordx4 v[12:15], v0, s[8:9] offset:136
	global_load_dwordx4 v[19:22], v0, s[8:9] offset:152
	;; [unrolled: 1-line block ×6, first 2 shown]
	v_add_nc_u32_e32 v0, 0x400, v44
	ds_read2_b64 v[49:52], v44 offset0:34 offset1:68
	ds_read2_b64 v[53:56], v44 offset0:102 offset1:136
	;; [unrolled: 1-line block ×5, first 2 shown]
	ds_read_b64 v[0:1], v42
	ds_read2_b64 v[69:72], v2 offset0:118 offset1:152
	s_waitcnt vmcnt(0) lgkmcnt(0)
	s_barrier
	buffer_gl0_inv
	v_mul_f32_e32 v35, v13, v50
	v_mul_f32_e32 v5, v13, v49
	;; [unrolled: 1-line block ×13, first 2 shown]
	v_fmac_f32_e32 v35, v12, v49
	v_mul_f32_e32 v41, v20, v54
	v_mul_f32_e32 v13, v20, v53
	;; [unrolled: 1-line block ×11, first 2 shown]
	v_fma_f32 v46, v12, v50, -v5
	v_fmac_f32_e32 v40, v14, v51
	v_fmac_f32_e32 v18, v21, v55
	v_fma_f32 v20, v21, v56, -v15
	v_fma_f32 v12, v72, v47, -v34
	v_add_f32_e32 v21, v35, v0
	v_fma_f32 v48, v14, v52, -v6
	v_fmac_f32_e32 v41, v19, v53
	v_fma_f32 v49, v19, v54, -v13
	v_fma_f32 v19, v58, v23, -v16
	;; [unrolled: 1-line block ×5, first 2 shown]
	v_fmac_f32_e32 v9, v69, v45
	v_fmac_f32_e32 v10, v71, v47
	v_fma_f32 v13, v70, v45, -v32
	v_add_f32_e32 v22, v46, v1
	v_add_f32_e32 v24, v46, v12
	v_sub_f32_e32 v26, v46, v12
	v_add_f32_e32 v21, v21, v40
	v_fmac_f32_e32 v17, v57, v23
	v_fmac_f32_e32 v3, v59, v25
	;; [unrolled: 1-line block ×5, first 2 shown]
	v_fma_f32 v15, v66, v31, -v28
	v_fmac_f32_e32 v8, v67, v33
	v_fma_f32 v14, v68, v33, -v30
	v_add_f32_e32 v23, v35, v10
	v_sub_f32_e32 v25, v35, v10
	v_add_f32_e32 v27, v40, v9
	v_add_f32_e32 v28, v48, v13
	v_sub_f32_e32 v29, v40, v9
	v_sub_f32_e32 v30, v48, v13
	v_add_f32_e32 v22, v22, v48
	v_mul_f32_e32 v40, 0xbeedf032, v26
	v_mul_f32_e32 v48, 0x3f62ad3f, v24
	;; [unrolled: 1-line block ×7, first 2 shown]
	v_add_f32_e32 v21, v21, v41
	v_add_f32_e32 v31, v41, v8
	;; [unrolled: 1-line block ×3, first 2 shown]
	v_sub_f32_e32 v33, v41, v8
	v_sub_f32_e32 v34, v49, v14
	v_add_f32_e32 v35, v18, v7
	v_sub_f32_e32 v46, v18, v7
	v_mul_f32_e32 v55, 0x3f116cb1, v24
	v_mul_f32_e32 v57, 0x3df6dbef, v24
	;; [unrolled: 1-line block ×11, first 2 shown]
	v_add_f32_e32 v22, v22, v49
	v_fmamk_f32 v41, v23, 0x3f62ad3f, v40
	v_fmamk_f32 v49, v25, 0x3eedf032, v48
	v_fma_f32 v40, 0x3f62ad3f, v23, -v40
	v_fmac_f32_e32 v48, 0xbeedf032, v25
	v_fmamk_f32 v102, v23, 0x3f116cb1, v54
	v_fma_f32 v54, 0x3f116cb1, v23, -v54
	v_fmamk_f32 v104, v23, 0x3df6dbef, v56
	v_fma_f32 v56, 0x3df6dbef, v23, -v56
	;; [unrolled: 2-line block ×5, first 2 shown]
	v_add_f32_e32 v18, v21, v18
	v_sub_f32_e32 v47, v20, v15
	v_add_f32_e32 v50, v17, v11
	v_sub_f32_e32 v52, v17, v11
	v_mul_f32_e32 v63, 0x3f116cb1, v28
	v_mul_f32_e32 v65, 0xbeb58ec6, v28
	;; [unrolled: 1-line block ×12, first 2 shown]
	v_fmamk_f32 v103, v25, 0x3f52af12, v55
	v_fmac_f32_e32 v55, 0xbf52af12, v25
	v_fmamk_f32 v105, v25, 0x3f7e222b, v57
	v_fmac_f32_e32 v57, 0xbf7e222b, v25
	;; [unrolled: 2-line block ×5, first 2 shown]
	v_fmamk_f32 v25, v27, 0x3f116cb1, v62
	v_fma_f32 v62, 0x3f116cb1, v27, -v62
	v_fmamk_f32 v112, v27, 0xbeb58ec6, v64
	v_fma_f32 v64, 0xbeb58ec6, v27, -v64
	;; [unrolled: 2-line block ×6, first 2 shown]
	v_add_f32_e32 v21, v41, v0
	v_add_f32_e32 v40, v40, v0
	;; [unrolled: 1-line block ×15, first 2 shown]
	v_mul_f32_e32 v73, 0x3df6dbef, v32
	v_mul_f32_e32 v75, 0xbf788fa5, v32
	;; [unrolled: 1-line block ×12, first 2 shown]
	v_fmamk_f32 v26, v29, 0x3f52af12, v63
	v_fmac_f32_e32 v63, 0xbf52af12, v29
	v_fmamk_f32 v113, v29, 0x3f6f5d39, v65
	v_fmac_f32_e32 v65, 0xbf6f5d39, v29
	;; [unrolled: 2-line block ×6, first 2 shown]
	v_fmamk_f32 v29, v31, 0x3df6dbef, v72
	v_fma_f32 v72, 0x3df6dbef, v31, -v72
	v_fmamk_f32 v122, v31, 0xbf788fa5, v74
	v_fma_f32 v74, 0xbf788fa5, v31, -v74
	;; [unrolled: 2-line block ×6, first 2 shown]
	v_add_f32_e32 v20, v22, v20
	v_add_f32_e32 v0, v27, v0
	;; [unrolled: 1-line block ×3, first 2 shown]
	v_fmamk_f32 v30, v33, 0x3f7e222b, v73
	v_fmac_f32_e32 v73, 0xbf7e222b, v33
	v_fmamk_f32 v123, v33, 0x3e750f2a, v75
	v_fmac_f32_e32 v75, 0xbe750f2a, v33
	;; [unrolled: 2-line block ×6, first 2 shown]
	v_fmamk_f32 v33, v35, 0xbeb58ec6, v82
	v_fma_f32 v82, 0xbeb58ec6, v35, -v82
	v_fmamk_f32 v132, v35, 0xbf3f9e67, v84
	v_fma_f32 v84, 0xbf3f9e67, v35, -v84
	;; [unrolled: 2-line block ×6, first 2 shown]
	v_add_f32_e32 v22, v49, v1
	v_add_f32_e32 v49, v103, v1
	;; [unrolled: 1-line block ×14, first 2 shown]
	v_mul_f32_e32 v83, 0xbeb58ec6, v45
	v_mul_f32_e32 v85, 0xbf3f9e67, v45
	;; [unrolled: 1-line block ×6, first 2 shown]
	v_add_f32_e32 v1, v28, v1
	v_add_f32_e32 v18, v18, v5
	;; [unrolled: 1-line block ×5, first 2 shown]
	v_fmamk_f32 v141, v46, 0xbf52af12, v45
	v_fmac_f32_e32 v45, 0x3f52af12, v46
	v_add_f32_e32 v20, v26, v22
	v_add_f32_e32 v22, v63, v41
	;; [unrolled: 1-line block ×12, first 2 shown]
	v_sub_f32_e32 v53, v19, v16
	v_mul_f32_e32 v93, 0xbf3f9e67, v51
	v_mul_f32_e32 v95, 0x3df6dbef, v51
	;; [unrolled: 1-line block ×5, first 2 shown]
	v_fmamk_f32 v34, v46, 0x3f6f5d39, v83
	v_fmamk_f32 v133, v46, 0xbf29c268, v85
	v_fmac_f32_e32 v85, 0x3f29c268, v46
	v_fmamk_f32 v135, v46, 0xbeedf032, v87
	v_fmac_f32_e32 v87, 0x3eedf032, v46
	v_fmamk_f32 v137, v46, 0x3f7e222b, v89
	v_fmamk_f32 v139, v46, 0xbe750f2a, v91
	v_add_f32_e32 v19, v25, v21
	v_add_f32_e32 v21, v62, v40
	;; [unrolled: 1-line block ×21, first 2 shown]
	v_mul_f32_e32 v92, 0xbf29c268, v53
	v_mul_f32_e32 v94, 0x3f7e222b, v53
	;; [unrolled: 1-line block ×5, first 2 shown]
	v_fmac_f32_e32 v89, 0xbf7e222b, v46
	v_fmamk_f32 v47, v52, 0x3f29c268, v93
	v_fmamk_f32 v143, v52, 0xbf7e222b, v95
	v_fmac_f32_e32 v95, 0x3f7e222b, v52
	v_fmamk_f32 v145, v52, 0x3f52af12, v97
	v_fmac_f32_e32 v97, 0xbf52af12, v52
	v_fmamk_f32 v147, v52, 0xbe750f2a, v99
	v_fmamk_f32 v149, v52, 0xbeedf032, v101
	v_add_f32_e32 v63, v121, v109
	v_add_f32_e32 v19, v29, v19
	;; [unrolled: 1-line block ×21, first 2 shown]
	v_mul_f32_e32 v7, 0xbf6f5d39, v53
	v_fmac_f32_e32 v83, 0xbf6f5d39, v46
	v_fmac_f32_e32 v91, 0x3e750f2a, v46
	v_fmamk_f32 v46, v50, 0xbf3f9e67, v92
	v_fma_f32 v92, 0xbf3f9e67, v50, -v92
	v_fmamk_f32 v142, v50, 0x3df6dbef, v94
	v_fma_f32 v94, 0x3df6dbef, v50, -v94
	;; [unrolled: 2-line block ×3, first 2 shown]
	v_fmamk_f32 v146, v50, 0xbf788fa5, v98
	v_fmac_f32_e32 v99, 0x3e750f2a, v52
	v_fmamk_f32 v148, v50, 0x3f62ad3f, v100
	v_add_f32_e32 v59, v131, v63
	v_add_f32_e32 v19, v33, v19
	;; [unrolled: 1-line block ×20, first 2 shown]
	v_fma_f32 v8, 0x3f62ad3f, v50, -v100
	v_add_f32_e32 v30, v149, v41
	v_fmamk_f32 v9, v50, 0xbeb58ec6, v7
	v_mul_f32_e32 v10, 0xbeb58ec6, v51
	v_sub_f32_e32 v32, v5, v6
	v_add_f32_e32 v41, v5, v6
	v_add_f32_e32 v22, v73, v22
	;; [unrolled: 1-line block ×15, first 2 shown]
	v_fmamk_f32 v8, v52, 0x3f6f5d39, v10
	v_add_f32_e32 v40, v3, v4
	v_mul_f32_e32 v9, 0xbe750f2a, v32
	v_fmac_f32_e32 v10, 0xbf6f5d39, v52
	v_sub_f32_e32 v46, v3, v4
	v_mul_f32_e32 v6, 0xbf788fa5, v41
	v_fmac_f32_e32 v93, 0xbf29c268, v52
	v_add_f32_e32 v22, v83, v22
	v_add_f32_e32 v27, v134, v27
	;; [unrolled: 1-line block ×3, first 2 shown]
	v_fma_f32 v5, 0xbeb58ec6, v50, -v7
	v_fmamk_f32 v3, v40, 0xbf788fa5, v9
	v_add_f32_e32 v47, v8, v55
	v_add_f32_e32 v45, v10, v45
	v_fmamk_f32 v4, v46, 0x3e750f2a, v6
	v_mul_f32_e32 v8, 0x3eedf032, v32
	v_mul_f32_e32 v10, 0x3f62ad3f, v41
	;; [unrolled: 1-line block ×3, first 2 shown]
	v_add_f32_e32 v18, v93, v22
	v_add_f32_e32 v22, v144, v27
	v_add_f32_e32 v35, v5, v35
	v_add_f32_e32 v3, v3, v11
	v_fma_f32 v5, 0xbf788fa5, v40, -v9
	v_add_f32_e32 v4, v4, v16
	v_fmamk_f32 v7, v40, 0x3f62ad3f, v8
	v_fmamk_f32 v9, v46, 0xbeedf032, v10
	v_fma_f32 v11, 0x3f62ad3f, v40, -v8
	v_fmac_f32_e32 v10, 0x3eedf032, v46
	v_fmamk_f32 v13, v40, 0xbf3f9e67, v12
	v_mul_f32_e32 v16, 0xbf3f9e67, v41
	v_fmac_f32_e32 v6, 0xbe750f2a, v46
	v_add_f32_e32 v5, v5, v17
	v_add_f32_e32 v7, v7, v19
	;; [unrolled: 1-line block ×5, first 2 shown]
	v_mul_f32_e32 v17, 0x3f52af12, v32
	v_add_f32_e32 v11, v13, v22
	v_fmamk_f32 v13, v46, 0x3f29c268, v16
	v_fma_f32 v15, 0xbf3f9e67, v40, -v12
	v_fmac_f32_e32 v16, 0xbf29c268, v46
	v_mul_f32_e32 v19, 0x3f116cb1, v41
	v_add_f32_e32 v61, v71, v61
	v_add_f32_e32 v6, v6, v18
	v_fmamk_f32 v18, v40, 0x3f116cb1, v17
	v_add_f32_e32 v12, v13, v23
	v_add_f32_e32 v13, v15, v14
	;; [unrolled: 1-line block ×3, first 2 shown]
	v_fmamk_f32 v16, v46, 0xbf52af12, v19
	v_mul_f32_e32 v20, 0xbf6f5d39, v32
	v_mul_f32_e32 v22, 0xbeb58ec6, v41
	v_add_f32_e32 v57, v81, v61
	v_add_f32_e32 v15, v18, v25
	v_fmac_f32_e32 v19, 0x3f52af12, v46
	v_add_f32_e32 v16, v16, v26
	v_fmamk_f32 v21, v40, 0xbeb58ec6, v20
	v_fmamk_f32 v23, v46, 0x3f6f5d39, v22
	v_fma_f32 v24, 0xbeb58ec6, v40, -v20
	v_mul_f32_e32 v25, 0x3f7e222b, v32
	v_mul_f32_e32 v26, 0x3df6dbef, v41
	v_fma_f32 v98, 0xbf788fa5, v50, -v98
	v_add_f32_e32 v49, v91, v57
	v_fmac_f32_e32 v101, 0x3eedf032, v52
	v_add_f32_e32 v18, v19, v28
	v_add_f32_e32 v19, v21, v29
	;; [unrolled: 1-line block ×4, first 2 shown]
	v_fmamk_f32 v23, v40, 0x3df6dbef, v25
	v_fmamk_f32 v24, v46, 0xbf7e222b, v26
	v_fma_f32 v25, 0x3df6dbef, v40, -v25
	v_fmac_f32_e32 v26, 0x3f7e222b, v46
	v_add_f32_e32 v27, v98, v33
	v_add_f32_e32 v33, v101, v49
	v_fma_f32 v17, 0x3f116cb1, v40, -v17
	v_fmac_f32_e32 v22, 0xbf6f5d39, v46
	v_add_f32_e32 v23, v23, v34
	v_add_f32_e32 v24, v24, v47
	v_add_f32_e32 v25, v25, v35
	v_add_f32_e32 v26, v26, v45
	v_add_f32_e32 v17, v17, v27
	v_add_f32_e32 v22, v22, v33
	ds_write2_b64 v44, v[0:1], v[3:4] offset1:34
	ds_write2_b64 v44, v[7:8], v[11:12] offset0:68 offset1:102
	ds_write2_b64 v44, v[15:16], v[19:20] offset0:136 offset1:170
	;; [unrolled: 1-line block ×5, first 2 shown]
	ds_write_b64 v44, v[5:6] offset:3264
	s_waitcnt lgkmcnt(0)
	s_barrier
	buffer_gl0_inv
	ds_read_b64 v[0:1], v42
	v_sub_nc_u32_e32 v6, v37, v43
                                        ; implicit-def: $vgpr5
                                        ; implicit-def: $vgpr7
                                        ; implicit-def: $vgpr2_vgpr3
	v_cmpx_ne_u32_e32 0, v36
	s_xor_b32 s6, exec_lo, s6
	s_cbranch_execz .LBB0_18
; %bb.17:
	v_mov_b32_e32 v37, 0
	ds_read_b64 v[4:5], v6 offset:3536
	v_lshlrev_b64 v[2:3], 3, v[36:37]
	v_add_co_u32 v2, s1, s4, v2
	v_add_co_ci_u32_e64 v3, s1, s5, v3, s1
	global_load_dwordx2 v[2:3], v[2:3], off
	s_waitcnt lgkmcnt(0)
	v_sub_f32_e32 v7, v0, v4
	v_add_f32_e32 v8, v5, v1
	v_sub_f32_e32 v1, v1, v5
	v_add_f32_e32 v0, v4, v0
	v_mul_f32_e32 v5, 0.5, v7
	v_mul_f32_e32 v4, 0.5, v8
	;; [unrolled: 1-line block ×3, first 2 shown]
	s_waitcnt vmcnt(0)
	v_mul_f32_e32 v7, v3, v5
	v_fma_f32 v8, v4, v3, v1
	v_fma_f32 v1, v4, v3, -v1
	v_fma_f32 v9, 0.5, v0, v7
	v_fma_f32 v0, v0, 0.5, -v7
	v_fma_f32 v7, -v2, v5, v8
	v_fma_f32 v5, -v2, v5, v1
	v_fmac_f32_e32 v9, v2, v4
	v_fma_f32 v4, -v2, v4, v0
	v_mov_b32_e32 v2, v36
	v_mov_b32_e32 v3, v37
                                        ; implicit-def: $vgpr0_vgpr1
                                        ; implicit-def: $vgpr37
	ds_write_b32 v42, v9
.LBB0_18:
	s_andn2_saveexec_b32 s1, s6
	s_cbranch_execz .LBB0_20
; %bb.19:
	ds_read_b32 v2, v37 offset:1772
	v_mov_b32_e32 v7, 0
	s_waitcnt lgkmcnt(1)
	v_add_f32_e32 v8, v0, v1
	v_sub_f32_e32 v4, v0, v1
	v_mov_b32_e32 v5, v7
	s_waitcnt lgkmcnt(0)
	v_xor_b32_e32 v0, 0x80000000, v2
	v_mov_b32_e32 v2, 0
	v_mov_b32_e32 v3, 0
	ds_write_b32 v42, v8
	ds_write_b32 v37, v0 offset:1772
.LBB0_20:
	s_or_b32 exec_lo, exec_lo, s1
	s_waitcnt lgkmcnt(0)
	v_lshlrev_b64 v[0:1], 3, v[2:3]
	v_add_co_u32 v2, s1, s4, v0
	v_add_co_ci_u32_e64 v3, s1, s5, v1, s1
	s_clause 0x4
	global_load_dwordx2 v[8:9], v[2:3], off offset:272
	global_load_dwordx2 v[10:11], v[2:3], off offset:544
	;; [unrolled: 1-line block ×5, first 2 shown]
	ds_write_b32 v42, v7 offset:4
	ds_write_b64 v6, v[4:5] offset:3536
	ds_read_b64 v[4:5], v42 offset:272
	ds_read_b64 v[18:19], v6 offset:3264
	s_waitcnt lgkmcnt(0)
	v_sub_f32_e32 v7, v4, v18
	v_add_f32_e32 v20, v5, v19
	v_sub_f32_e32 v5, v5, v19
	v_add_f32_e32 v18, v4, v18
	v_mul_f32_e32 v7, 0.5, v7
	v_mul_f32_e32 v19, 0.5, v20
	v_mul_f32_e32 v5, 0.5, v5
	s_waitcnt vmcnt(4)
	v_mul_f32_e32 v20, v9, v7
	v_fma_f32 v21, v19, v9, v5
	v_fma_f32 v9, v19, v9, -v5
	v_fma_f32 v4, 0.5, v18, v20
	v_fma_f32 v18, v18, 0.5, -v20
	v_fma_f32 v5, -v8, v7, v21
	v_fma_f32 v9, -v8, v7, v9
	v_fmac_f32_e32 v4, v8, v19
	v_fma_f32 v8, -v8, v19, v18
	ds_write_b64 v42, v[4:5] offset:272
	ds_write_b64 v6, v[8:9] offset:3264
	ds_read_b64 v[4:5], v42 offset:544
	ds_read_b64 v[7:8], v6 offset:2992
	s_waitcnt lgkmcnt(0)
	v_sub_f32_e32 v9, v4, v7
	v_add_f32_e32 v18, v5, v8
	v_sub_f32_e32 v5, v5, v8
	v_add_f32_e32 v7, v4, v7
	v_mul_f32_e32 v8, 0.5, v9
	v_mul_f32_e32 v9, 0.5, v18
	v_mul_f32_e32 v5, 0.5, v5
	s_waitcnt vmcnt(3)
	v_mul_f32_e32 v18, v11, v8
	v_fma_f32 v19, v9, v11, v5
	v_fma_f32 v11, v9, v11, -v5
	v_fma_f32 v4, 0.5, v7, v18
	v_fma_f32 v7, v7, 0.5, -v18
	v_fma_f32 v5, -v10, v8, v19
	v_fma_f32 v8, -v10, v8, v11
	v_fmac_f32_e32 v4, v10, v9
	v_fma_f32 v7, -v10, v9, v7
	ds_write_b64 v42, v[4:5] offset:544
	;; [unrolled: 22-line block ×5, first 2 shown]
	ds_write_b64 v6, v[7:8] offset:2176
	s_and_saveexec_b32 s1, s0
	s_cbranch_execz .LBB0_22
; %bb.21:
	global_load_dwordx2 v[2:3], v[2:3], off offset:1632
	ds_read_b64 v[4:5], v42 offset:1632
	ds_read_b64 v[7:8], v6 offset:1904
	s_waitcnt lgkmcnt(0)
	v_sub_f32_e32 v9, v4, v7
	v_add_f32_e32 v10, v5, v8
	v_sub_f32_e32 v5, v5, v8
	v_add_f32_e32 v4, v4, v7
	v_mul_f32_e32 v8, 0.5, v9
	v_mul_f32_e32 v9, 0.5, v10
	v_mul_f32_e32 v5, 0.5, v5
	s_waitcnt vmcnt(0)
	v_mul_f32_e32 v7, v3, v8
	v_fma_f32 v10, v9, v3, v5
	v_fma_f32 v5, v9, v3, -v5
	v_fma_f32 v3, 0.5, v4, v7
	v_fma_f32 v7, v4, 0.5, -v7
	v_fma_f32 v4, -v2, v8, v10
	v_fma_f32 v8, -v2, v8, v5
	v_fmac_f32_e32 v3, v2, v9
	v_fma_f32 v7, -v2, v9, v7
	ds_write_b64 v42, v[3:4] offset:1632
	ds_write_b64 v6, v[7:8] offset:1904
.LBB0_22:
	s_or_b32 exec_lo, exec_lo, s1
	s_waitcnt lgkmcnt(0)
	s_barrier
	buffer_gl0_inv
	s_and_saveexec_b32 s0, vcc_lo
	s_cbranch_execz .LBB0_25
; %bb.23:
	ds_read2_b64 v[4:7], v42 offset1:34
	ds_read2_b64 v[8:11], v42 offset0:68 offset1:102
	v_add_nc_u32_e32 v24, 0x800, v42
	v_add_co_u32 v2, vcc_lo, s2, v38
	ds_read2_b64 v[12:15], v42 offset0:136 offset1:170
	ds_read2_b64 v[16:19], v42 offset0:204 offset1:238
	ds_read2_b64 v[20:23], v24 offset0:16 offset1:50
	ds_read2_b64 v[24:27], v24 offset0:84 offset1:118
	ds_read_b64 v[28:29], v42 offset:3264
	v_add_co_ci_u32_e32 v3, vcc_lo, s3, v39, vcc_lo
	v_add_co_u32 v0, vcc_lo, v2, v0
	v_add_co_ci_u32_e32 v1, vcc_lo, v3, v1, vcc_lo
	s_waitcnt lgkmcnt(6)
	global_store_dwordx2 v[0:1], v[4:5], off
	global_store_dwordx2 v[0:1], v[6:7], off offset:272
	s_waitcnt lgkmcnt(5)
	global_store_dwordx2 v[0:1], v[8:9], off offset:544
	global_store_dwordx2 v[0:1], v[10:11], off offset:816
	v_add_co_u32 v4, vcc_lo, 0x800, v0
	v_add_co_ci_u32_e32 v5, vcc_lo, 0, v1, vcc_lo
	v_cmp_eq_u32_e32 vcc_lo, 33, v36
	s_waitcnt lgkmcnt(4)
	global_store_dwordx2 v[0:1], v[12:13], off offset:1088
	global_store_dwordx2 v[0:1], v[14:15], off offset:1360
	s_waitcnt lgkmcnt(3)
	global_store_dwordx2 v[0:1], v[16:17], off offset:1632
	global_store_dwordx2 v[0:1], v[18:19], off offset:1904
	;; [unrolled: 3-line block ×4, first 2 shown]
	s_waitcnt lgkmcnt(0)
	global_store_dwordx2 v[4:5], v[28:29], off offset:1216
	s_and_b32 exec_lo, exec_lo, vcc_lo
	s_cbranch_execz .LBB0_25
; %bb.24:
	ds_read_b64 v[0:1], v42 offset:3272
	v_add_co_u32 v2, vcc_lo, 0x800, v2
	v_add_co_ci_u32_e32 v3, vcc_lo, 0, v3, vcc_lo
	s_waitcnt lgkmcnt(0)
	global_store_dwordx2 v[2:3], v[0:1], off offset:1488
.LBB0_25:
	s_endpgm
	.section	.rodata,"a",@progbits
	.p2align	6, 0x0
	.amdhsa_kernel fft_rtc_back_len442_factors_17_2_13_wgs_238_tpt_34_halfLds_sp_ip_CI_unitstride_sbrr_R2C_dirReg
		.amdhsa_group_segment_fixed_size 0
		.amdhsa_private_segment_fixed_size 0
		.amdhsa_kernarg_size 88
		.amdhsa_user_sgpr_count 6
		.amdhsa_user_sgpr_private_segment_buffer 1
		.amdhsa_user_sgpr_dispatch_ptr 0
		.amdhsa_user_sgpr_queue_ptr 0
		.amdhsa_user_sgpr_kernarg_segment_ptr 1
		.amdhsa_user_sgpr_dispatch_id 0
		.amdhsa_user_sgpr_flat_scratch_init 0
		.amdhsa_user_sgpr_private_segment_size 0
		.amdhsa_wavefront_size32 1
		.amdhsa_uses_dynamic_stack 0
		.amdhsa_system_sgpr_private_segment_wavefront_offset 0
		.amdhsa_system_sgpr_workgroup_id_x 1
		.amdhsa_system_sgpr_workgroup_id_y 0
		.amdhsa_system_sgpr_workgroup_id_z 0
		.amdhsa_system_sgpr_workgroup_info 0
		.amdhsa_system_vgpr_workitem_id 0
		.amdhsa_next_free_vgpr 152
		.amdhsa_next_free_sgpr 21
		.amdhsa_reserve_vcc 1
		.amdhsa_reserve_flat_scratch 0
		.amdhsa_float_round_mode_32 0
		.amdhsa_float_round_mode_16_64 0
		.amdhsa_float_denorm_mode_32 3
		.amdhsa_float_denorm_mode_16_64 3
		.amdhsa_dx10_clamp 1
		.amdhsa_ieee_mode 1
		.amdhsa_fp16_overflow 0
		.amdhsa_workgroup_processor_mode 1
		.amdhsa_memory_ordered 1
		.amdhsa_forward_progress 0
		.amdhsa_shared_vgpr_count 0
		.amdhsa_exception_fp_ieee_invalid_op 0
		.amdhsa_exception_fp_denorm_src 0
		.amdhsa_exception_fp_ieee_div_zero 0
		.amdhsa_exception_fp_ieee_overflow 0
		.amdhsa_exception_fp_ieee_underflow 0
		.amdhsa_exception_fp_ieee_inexact 0
		.amdhsa_exception_int_div_zero 0
	.end_amdhsa_kernel
	.text
.Lfunc_end0:
	.size	fft_rtc_back_len442_factors_17_2_13_wgs_238_tpt_34_halfLds_sp_ip_CI_unitstride_sbrr_R2C_dirReg, .Lfunc_end0-fft_rtc_back_len442_factors_17_2_13_wgs_238_tpt_34_halfLds_sp_ip_CI_unitstride_sbrr_R2C_dirReg
                                        ; -- End function
	.section	.AMDGPU.csdata,"",@progbits
; Kernel info:
; codeLenInByte = 12252
; NumSgprs: 23
; NumVgprs: 152
; ScratchSize: 0
; MemoryBound: 0
; FloatMode: 240
; IeeeMode: 1
; LDSByteSize: 0 bytes/workgroup (compile time only)
; SGPRBlocks: 2
; VGPRBlocks: 18
; NumSGPRsForWavesPerEU: 23
; NumVGPRsForWavesPerEU: 152
; Occupancy: 6
; WaveLimiterHint : 1
; COMPUTE_PGM_RSRC2:SCRATCH_EN: 0
; COMPUTE_PGM_RSRC2:USER_SGPR: 6
; COMPUTE_PGM_RSRC2:TRAP_HANDLER: 0
; COMPUTE_PGM_RSRC2:TGID_X_EN: 1
; COMPUTE_PGM_RSRC2:TGID_Y_EN: 0
; COMPUTE_PGM_RSRC2:TGID_Z_EN: 0
; COMPUTE_PGM_RSRC2:TIDIG_COMP_CNT: 0
	.text
	.p2alignl 6, 3214868480
	.fill 48, 4, 3214868480
	.type	__hip_cuid_e452c108144c8d53,@object ; @__hip_cuid_e452c108144c8d53
	.section	.bss,"aw",@nobits
	.globl	__hip_cuid_e452c108144c8d53
__hip_cuid_e452c108144c8d53:
	.byte	0                               ; 0x0
	.size	__hip_cuid_e452c108144c8d53, 1

	.ident	"AMD clang version 19.0.0git (https://github.com/RadeonOpenCompute/llvm-project roc-6.4.0 25133 c7fe45cf4b819c5991fe208aaa96edf142730f1d)"
	.section	".note.GNU-stack","",@progbits
	.addrsig
	.addrsig_sym __hip_cuid_e452c108144c8d53
	.amdgpu_metadata
---
amdhsa.kernels:
  - .args:
      - .actual_access:  read_only
        .address_space:  global
        .offset:         0
        .size:           8
        .value_kind:     global_buffer
      - .offset:         8
        .size:           8
        .value_kind:     by_value
      - .actual_access:  read_only
        .address_space:  global
        .offset:         16
        .size:           8
        .value_kind:     global_buffer
      - .actual_access:  read_only
        .address_space:  global
        .offset:         24
        .size:           8
        .value_kind:     global_buffer
      - .offset:         32
        .size:           8
        .value_kind:     by_value
      - .actual_access:  read_only
        .address_space:  global
        .offset:         40
        .size:           8
        .value_kind:     global_buffer
      - .actual_access:  read_only
        .address_space:  global
        .offset:         48
        .size:           8
        .value_kind:     global_buffer
      - .offset:         56
        .size:           4
        .value_kind:     by_value
      - .actual_access:  read_only
        .address_space:  global
        .offset:         64
        .size:           8
        .value_kind:     global_buffer
      - .actual_access:  read_only
        .address_space:  global
        .offset:         72
        .size:           8
        .value_kind:     global_buffer
      - .address_space:  global
        .offset:         80
        .size:           8
        .value_kind:     global_buffer
    .group_segment_fixed_size: 0
    .kernarg_segment_align: 8
    .kernarg_segment_size: 88
    .language:       OpenCL C
    .language_version:
      - 2
      - 0
    .max_flat_workgroup_size: 238
    .name:           fft_rtc_back_len442_factors_17_2_13_wgs_238_tpt_34_halfLds_sp_ip_CI_unitstride_sbrr_R2C_dirReg
    .private_segment_fixed_size: 0
    .sgpr_count:     23
    .sgpr_spill_count: 0
    .symbol:         fft_rtc_back_len442_factors_17_2_13_wgs_238_tpt_34_halfLds_sp_ip_CI_unitstride_sbrr_R2C_dirReg.kd
    .uniform_work_group_size: 1
    .uses_dynamic_stack: false
    .vgpr_count:     152
    .vgpr_spill_count: 0
    .wavefront_size: 32
    .workgroup_processor_mode: 1
amdhsa.target:   amdgcn-amd-amdhsa--gfx1030
amdhsa.version:
  - 1
  - 2
...

	.end_amdgpu_metadata
